;; amdgpu-corpus repo=ROCm/rocFFT kind=compiled arch=gfx906 opt=O3
	.text
	.amdgcn_target "amdgcn-amd-amdhsa--gfx906"
	.amdhsa_code_object_version 6
	.protected	fft_rtc_fwd_len336_factors_6_7_8_wgs_336_tpt_56_half_ip_CI_sbcc_twdbase6_3step_dirReg_intrinsicReadWrite ; -- Begin function fft_rtc_fwd_len336_factors_6_7_8_wgs_336_tpt_56_half_ip_CI_sbcc_twdbase6_3step_dirReg_intrinsicReadWrite
	.globl	fft_rtc_fwd_len336_factors_6_7_8_wgs_336_tpt_56_half_ip_CI_sbcc_twdbase6_3step_dirReg_intrinsicReadWrite
	.p2align	8
	.type	fft_rtc_fwd_len336_factors_6_7_8_wgs_336_tpt_56_half_ip_CI_sbcc_twdbase6_3step_dirReg_intrinsicReadWrite,@function
fft_rtc_fwd_len336_factors_6_7_8_wgs_336_tpt_56_half_ip_CI_sbcc_twdbase6_3step_dirReg_intrinsicReadWrite: ; @fft_rtc_fwd_len336_factors_6_7_8_wgs_336_tpt_56_half_ip_CI_sbcc_twdbase6_3step_dirReg_intrinsicReadWrite
; %bb.0:
	s_load_dwordx8 s[8:15], s[4:5], 0x8
	s_movk_i32 s0, 0xc0
	v_cmp_gt_u32_e32 vcc, s0, v0
	s_and_saveexec_b64 s[0:1], vcc
	s_cbranch_execz .LBB0_2
; %bb.1:
	v_lshlrev_b32_e32 v1, 2, v0
	s_waitcnt lgkmcnt(0)
	global_load_dword v2, v1, s[8:9]
	v_add_u32_e32 v1, 0, v1
	s_waitcnt vmcnt(0)
	ds_write_b32 v1, v2 offset:8064
.LBB0_2:
	s_or_b64 exec, exec, s[0:1]
	s_waitcnt lgkmcnt(0)
	s_load_dwordx2 s[2:3], s[12:13], 0x8
	s_mov_b32 s7, 0
	s_mov_b64 s[24:25], 0
	s_waitcnt lgkmcnt(0)
	s_add_u32 s0, s2, -1
	s_addc_u32 s1, s3, -1
	s_add_u32 s8, 0, 0xaaa80000
	s_addc_u32 s9, 0, 0xaa
	s_mul_hi_u32 s17, s8, -6
	s_add_i32 s9, s9, 0x2aaaaa00
	s_sub_i32 s17, s17, s8
	s_mul_i32 s20, s9, -6
	s_mul_i32 s16, s8, -6
	s_add_i32 s17, s17, s20
	s_mul_hi_u32 s18, s9, s16
	s_mul_i32 s19, s9, s16
	s_mul_i32 s21, s8, s17
	s_mul_hi_u32 s16, s8, s16
	s_mul_hi_u32 s20, s8, s17
	s_add_u32 s16, s16, s21
	s_addc_u32 s20, 0, s20
	s_add_u32 s16, s16, s19
	s_mul_hi_u32 s21, s9, s17
	s_addc_u32 s16, s20, s18
	s_addc_u32 s18, s21, 0
	s_mul_i32 s17, s9, s17
	s_add_u32 s16, s16, s17
	v_mov_b32_e32 v1, s16
	s_addc_u32 s17, 0, s18
	v_add_co_u32_e32 v1, vcc, s8, v1
	s_cmp_lg_u64 vcc, 0
	s_addc_u32 s8, s9, s17
	v_readfirstlane_b32 s17, v1
	s_mul_i32 s16, s0, s8
	s_mul_hi_u32 s18, s0, s17
	s_mul_hi_u32 s9, s0, s8
	s_add_u32 s16, s18, s16
	s_addc_u32 s9, 0, s9
	s_mul_hi_u32 s19, s1, s17
	s_mul_i32 s17, s1, s17
	s_add_u32 s16, s16, s17
	s_mul_hi_u32 s18, s1, s8
	s_addc_u32 s9, s9, s19
	s_addc_u32 s16, s18, 0
	s_mul_i32 s8, s1, s8
	s_add_u32 s8, s9, s8
	s_addc_u32 s9, 0, s16
	s_add_u32 s16, s8, 1
	s_addc_u32 s17, s9, 0
	s_add_u32 s18, s8, 2
	s_mul_i32 s20, s9, 6
	s_mul_hi_u32 s21, s8, 6
	s_addc_u32 s19, s9, 0
	s_add_i32 s21, s21, s20
	s_mul_i32 s20, s8, 6
	v_mov_b32_e32 v1, s20
	v_sub_co_u32_e32 v1, vcc, s0, v1
	s_cmp_lg_u64 vcc, 0
	s_subb_u32 s0, s1, s21
	v_subrev_co_u32_e32 v2, vcc, 6, v1
	s_cmp_lg_u64 vcc, 0
	s_subb_u32 s1, s0, 0
	v_readfirstlane_b32 s20, v2
	s_cmp_gt_u32 s20, 5
	s_cselect_b32 s20, -1, 0
	s_cmp_eq_u32 s1, 0
	s_cselect_b32 s1, s20, -1
	s_cmp_lg_u32 s1, 0
	s_cselect_b32 s1, s18, s16
	s_cselect_b32 s16, s19, s17
	v_readfirstlane_b32 s17, v1
	s_cmp_gt_u32 s17, 5
	s_cselect_b32 s17, -1, 0
	s_cmp_eq_u32 s0, 0
	s_cselect_b32 s0, s17, -1
	s_cmp_lg_u32 s0, 0
	s_cselect_b32 s1, s1, s8
	s_cselect_b32 s0, s16, s9
	s_add_u32 s22, s1, 1
	s_addc_u32 s23, s0, 0
	v_mov_b32_e32 v1, s22
	v_mov_b32_e32 v2, s23
	v_cmp_lt_u64_e32 vcc, s[6:7], v[1:2]
	s_cbranch_vccnz .LBB0_4
; %bb.3:
	v_cvt_f32_u32_e32 v1, s22
	s_sub_i32 s0, 0, s22
	s_mov_b32 s25, s7
	v_rcp_iflag_f32_e32 v1, v1
	v_mul_f32_e32 v1, 0x4f7ffffe, v1
	v_cvt_u32_f32_e32 v1, v1
	v_readfirstlane_b32 s1, v1
	s_mul_i32 s0, s0, s1
	s_mul_hi_u32 s0, s1, s0
	s_add_i32 s1, s1, s0
	s_mul_hi_u32 s0, s6, s1
	s_mul_i32 s8, s0, s22
	s_sub_i32 s8, s6, s8
	s_add_i32 s1, s0, 1
	s_sub_i32 s9, s8, s22
	s_cmp_ge_u32 s8, s22
	s_cselect_b32 s0, s1, s0
	s_cselect_b32 s8, s9, s8
	s_add_i32 s1, s0, 1
	s_cmp_ge_u32 s8, s22
	s_cselect_b32 s24, s1, s0
.LBB0_4:
	s_mul_i32 s0, s24, s23
	s_mul_hi_u32 s1, s24, s22
	s_load_dwordx2 s[8:9], s[4:5], 0x58
	s_load_dwordx2 s[20:21], s[4:5], 0x0
	s_load_dwordx4 s[16:19], s[14:15], 0x0
	s_add_i32 s1, s1, s0
	s_mul_i32 s0, s24, s22
	s_sub_u32 s33, s6, s0
	s_subb_u32 s0, 0, s1
	s_mul_i32 s0, s0, 6
	s_waitcnt lgkmcnt(0)
	s_mul_hi_u32 s17, s33, 6
	s_add_i32 s17, s17, s0
	s_mul_i32 s33, s33, 6
	s_mul_i32 s0, s18, s17
	s_mul_hi_u32 s1, s18, s33
	s_add_i32 s0, s1, s0
	s_mul_i32 s1, s19, s33
	s_add_i32 s36, s0, s1
	v_cmp_lt_u64_e64 s[0:1], s[10:11], 3
	s_mul_i32 s19, s18, s33
	s_and_b64 vcc, exec, s[0:1]
	s_cbranch_vccnz .LBB0_12
; %bb.5:
	s_add_u32 s4, s14, 16
	s_addc_u32 s5, s15, 0
	s_add_u32 s12, s12, 16
	v_mov_b32_e32 v1, s10
	s_addc_u32 s13, s13, 0
	s_mov_b64 s[26:27], 2
	s_mov_b32 s28, 0
	v_mov_b32_e32 v2, s11
.LBB0_6:                                ; =>This Inner Loop Header: Depth=1
	s_load_dwordx2 s[30:31], s[12:13], 0x0
	s_waitcnt lgkmcnt(0)
	s_or_b64 s[0:1], s[24:25], s[30:31]
	s_mov_b32 s29, s1
	s_cmp_lg_u64 s[28:29], 0
	s_cbranch_scc0 .LBB0_11
; %bb.7:                                ;   in Loop: Header=BB0_6 Depth=1
	v_cvt_f32_u32_e32 v3, s30
	v_cvt_f32_u32_e32 v4, s31
	s_sub_u32 s0, 0, s30
	s_subb_u32 s1, 0, s31
	v_mac_f32_e32 v3, 0x4f800000, v4
	v_rcp_f32_e32 v3, v3
	v_mul_f32_e32 v3, 0x5f7ffffc, v3
	v_mul_f32_e32 v4, 0x2f800000, v3
	v_trunc_f32_e32 v4, v4
	v_mac_f32_e32 v3, 0xcf800000, v4
	v_cvt_u32_f32_e32 v4, v4
	v_cvt_u32_f32_e32 v3, v3
	v_readfirstlane_b32 s29, v4
	v_readfirstlane_b32 s34, v3
	s_mul_i32 s35, s0, s29
	s_mul_hi_u32 s38, s0, s34
	s_mul_i32 s37, s1, s34
	s_add_i32 s35, s38, s35
	s_mul_i32 s39, s0, s34
	s_add_i32 s35, s35, s37
	s_mul_hi_u32 s37, s34, s35
	s_mul_i32 s38, s34, s35
	s_mul_hi_u32 s34, s34, s39
	s_add_u32 s34, s34, s38
	s_addc_u32 s37, 0, s37
	s_mul_hi_u32 s40, s29, s39
	s_mul_i32 s39, s29, s39
	s_add_u32 s34, s34, s39
	s_mul_hi_u32 s38, s29, s35
	s_addc_u32 s34, s37, s40
	s_addc_u32 s37, s38, 0
	s_mul_i32 s35, s29, s35
	s_add_u32 s34, s34, s35
	s_addc_u32 s35, 0, s37
	v_add_co_u32_e32 v3, vcc, s34, v3
	s_cmp_lg_u64 vcc, 0
	s_addc_u32 s29, s29, s35
	v_readfirstlane_b32 s35, v3
	s_mul_i32 s34, s0, s29
	s_mul_hi_u32 s37, s0, s35
	s_add_i32 s34, s37, s34
	s_mul_i32 s1, s1, s35
	s_add_i32 s34, s34, s1
	s_mul_i32 s0, s0, s35
	s_mul_hi_u32 s37, s29, s0
	s_mul_i32 s38, s29, s0
	s_mul_i32 s40, s35, s34
	s_mul_hi_u32 s0, s35, s0
	s_mul_hi_u32 s39, s35, s34
	s_add_u32 s0, s0, s40
	s_addc_u32 s35, 0, s39
	s_add_u32 s0, s0, s38
	s_mul_hi_u32 s1, s29, s34
	s_addc_u32 s0, s35, s37
	s_addc_u32 s1, s1, 0
	s_mul_i32 s34, s29, s34
	s_add_u32 s0, s0, s34
	s_addc_u32 s1, 0, s1
	v_add_co_u32_e32 v3, vcc, s0, v3
	s_cmp_lg_u64 vcc, 0
	s_addc_u32 s0, s29, s1
	v_readfirstlane_b32 s34, v3
	s_mul_i32 s29, s24, s0
	s_mul_hi_u32 s35, s24, s34
	s_mul_hi_u32 s1, s24, s0
	s_add_u32 s29, s35, s29
	s_addc_u32 s1, 0, s1
	s_mul_hi_u32 s37, s25, s34
	s_mul_i32 s34, s25, s34
	s_add_u32 s29, s29, s34
	s_mul_hi_u32 s35, s25, s0
	s_addc_u32 s1, s1, s37
	s_addc_u32 s29, s35, 0
	s_mul_i32 s0, s25, s0
	s_add_u32 s34, s1, s0
	s_addc_u32 s29, 0, s29
	s_mul_i32 s0, s30, s29
	s_mul_hi_u32 s1, s30, s34
	s_add_i32 s0, s1, s0
	s_mul_i32 s1, s31, s34
	s_add_i32 s35, s0, s1
	s_mul_i32 s1, s30, s34
	v_mov_b32_e32 v3, s1
	s_sub_i32 s0, s25, s35
	v_sub_co_u32_e32 v3, vcc, s24, v3
	s_cmp_lg_u64 vcc, 0
	s_subb_u32 s37, s0, s31
	v_subrev_co_u32_e64 v4, s[0:1], s30, v3
	s_cmp_lg_u64 s[0:1], 0
	s_subb_u32 s0, s37, 0
	s_cmp_ge_u32 s0, s31
	v_readfirstlane_b32 s37, v4
	s_cselect_b32 s1, -1, 0
	s_cmp_ge_u32 s37, s30
	s_cselect_b32 s37, -1, 0
	s_cmp_eq_u32 s0, s31
	s_cselect_b32 s0, s37, s1
	s_add_u32 s1, s34, 1
	s_addc_u32 s37, s29, 0
	s_add_u32 s38, s34, 2
	s_addc_u32 s39, s29, 0
	s_cmp_lg_u32 s0, 0
	s_cselect_b32 s0, s38, s1
	s_cselect_b32 s1, s39, s37
	s_cmp_lg_u64 vcc, 0
	s_subb_u32 s35, s25, s35
	s_cmp_ge_u32 s35, s31
	v_readfirstlane_b32 s38, v3
	s_cselect_b32 s37, -1, 0
	s_cmp_ge_u32 s38, s30
	s_cselect_b32 s38, -1, 0
	s_cmp_eq_u32 s35, s31
	s_cselect_b32 s35, s38, s37
	s_cmp_lg_u32 s35, 0
	s_cselect_b32 s1, s1, s29
	s_cselect_b32 s0, s0, s34
	s_cbranch_execnz .LBB0_9
.LBB0_8:                                ;   in Loop: Header=BB0_6 Depth=1
	v_cvt_f32_u32_e32 v3, s30
	s_sub_i32 s0, 0, s30
	v_rcp_iflag_f32_e32 v3, v3
	v_mul_f32_e32 v3, 0x4f7ffffe, v3
	v_cvt_u32_f32_e32 v3, v3
	v_readfirstlane_b32 s1, v3
	s_mul_i32 s0, s0, s1
	s_mul_hi_u32 s0, s1, s0
	s_add_i32 s1, s1, s0
	s_mul_hi_u32 s0, s24, s1
	s_mul_i32 s29, s0, s30
	s_sub_i32 s29, s24, s29
	s_add_i32 s1, s0, 1
	s_sub_i32 s34, s29, s30
	s_cmp_ge_u32 s29, s30
	s_cselect_b32 s0, s1, s0
	s_cselect_b32 s29, s34, s29
	s_add_i32 s1, s0, 1
	s_cmp_ge_u32 s29, s30
	s_cselect_b32 s0, s1, s0
	s_mov_b32 s1, s28
.LBB0_9:                                ;   in Loop: Header=BB0_6 Depth=1
	s_mul_i32 s23, s30, s23
	s_mul_hi_u32 s29, s30, s22
	s_add_i32 s23, s29, s23
	s_mul_i32 s29, s31, s22
	s_add_i32 s23, s23, s29
	s_mul_i32 s29, s0, s31
	s_mul_hi_u32 s31, s0, s30
	s_load_dwordx2 s[34:35], s[4:5], 0x0
	s_add_i32 s29, s31, s29
	s_mul_i32 s31, s1, s30
	s_mul_i32 s22, s30, s22
	s_add_i32 s29, s29, s31
	s_mul_i32 s30, s0, s30
	s_sub_u32 s24, s24, s30
	s_subb_u32 s25, s25, s29
	s_waitcnt lgkmcnt(0)
	s_mul_i32 s25, s34, s25
	s_mul_hi_u32 s29, s34, s24
	s_add_i32 s25, s29, s25
	s_mul_i32 s29, s35, s24
	s_add_i32 s25, s25, s29
	s_mul_i32 s24, s34, s24
	s_add_u32 s19, s24, s19
	s_addc_u32 s36, s25, s36
	s_add_u32 s26, s26, 1
	s_addc_u32 s27, s27, 0
	;; [unrolled: 2-line block ×3, first 2 shown]
	v_cmp_ge_u64_e32 vcc, s[26:27], v[1:2]
	s_add_u32 s12, s12, 8
	s_addc_u32 s13, s13, 0
	s_cbranch_vccnz .LBB0_13
; %bb.10:                               ;   in Loop: Header=BB0_6 Depth=1
	s_mov_b64 s[24:25], s[0:1]
	s_branch .LBB0_6
.LBB0_11:                               ;   in Loop: Header=BB0_6 Depth=1
                                        ; implicit-def: $sgpr0_sgpr1
	s_branch .LBB0_8
.LBB0_12:
	v_mov_b32_e32 v1, s24
	v_mov_b32_e32 v2, s25
	s_branch .LBB0_15
.LBB0_13:
	v_mov_b32_e32 v1, s22
	v_mov_b32_e32 v2, s23
	v_cmp_lt_u64_e32 vcc, s[6:7], v[1:2]
	v_mov_b32_e32 v1, 0
	v_mov_b32_e32 v2, 0
	s_cbranch_vccnz .LBB0_15
; %bb.14:
	v_cvt_f32_u32_e32 v1, s22
	s_sub_i32 s0, 0, s22
	v_rcp_iflag_f32_e32 v1, v1
	v_mul_f32_e32 v1, 0x4f7ffffe, v1
	v_cvt_u32_f32_e32 v1, v1
	v_mul_lo_u32 v2, s0, v1
	v_mul_hi_u32 v2, v1, v2
	v_add_u32_e32 v1, v1, v2
	v_mul_hi_u32 v1, s6, v1
	v_mul_lo_u32 v2, v1, s22
	v_add_u32_e32 v3, 1, v1
	v_sub_u32_e32 v2, s6, v2
	v_subrev_u32_e32 v4, s22, v2
	v_cmp_le_u32_e32 vcc, s22, v2
	v_cndmask_b32_e32 v2, v2, v4, vcc
	v_cndmask_b32_e32 v1, v1, v3, vcc
	v_add_u32_e32 v3, 1, v1
	v_cmp_le_u32_e32 vcc, s22, v2
	v_cndmask_b32_e32 v1, v1, v3, vcc
.LBB0_15:
	s_lshl_b64 s[0:1], s[10:11], 3
	s_add_u32 s0, s14, s0
	s_addc_u32 s1, s15, s1
	s_load_dword s0, s[0:1], 0x0
	s_mov_b32 s6, 0x2aaaaaab
	v_mul_hi_u32 v12, v0, s6
	v_mov_b32_e32 v2, s17
	v_mov_b32_e32 v6, s3
	s_waitcnt lgkmcnt(0)
	v_mul_lo_u32 v1, s0, v1
	v_mul_u32_u24_e32 v3, 6, v12
	v_sub_u32_e32 v7, v0, v3
	v_add_co_u32_e32 v3, vcc, s33, v7
	v_add_u32_e32 v8, s19, v1
	v_addc_co_u32_e32 v4, vcc, 0, v2, vcc
	v_mad_u64_u32 v[1:2], s[4:5], s18, v7, 0
	v_mul_lo_u32 v2, s16, v12
	s_add_u32 s0, s33, 6
	s_addc_u32 s1, s17, 0
	v_mov_b32_e32 v5, s2
	v_cmp_le_u64_e64 s[0:1], s[0:1], v[5:6]
	v_cmp_gt_u64_e32 vcc, s[2:3], v[3:4]
	v_add_lshl_u32 v4, v1, v2, 2
	v_lshlrev_b32_e32 v2, 2, v8
	v_add_u32_e32 v5, 56, v12
	v_add_u32_e32 v6, 0x70, v12
	;; [unrolled: 1-line block ×5, first 2 shown]
	v_mul_lo_u32 v5, s16, v5
	v_mul_lo_u32 v6, s16, v6
	;; [unrolled: 1-line block ×5, first 2 shown]
	s_or_b64 s[2:3], s[0:1], vcc
	v_cndmask_b32_e64 v4, -1, v4, s[2:3]
	s_mov_b32 s11, 0x20000
	s_mov_b32 s10, -2
	v_readfirstlane_b32 s4, v2
	v_add_lshl_u32 v5, v1, v5, 2
	v_add_lshl_u32 v6, v1, v6, 2
	;; [unrolled: 1-line block ×5, first 2 shown]
	v_cndmask_b32_e64 v5, -1, v5, s[2:3]
	v_cndmask_b32_e64 v6, -1, v6, s[2:3]
	;; [unrolled: 1-line block ×4, first 2 shown]
	buffer_load_dword v11, v4, s[8:11], s4 offen
	buffer_load_dword v14, v5, s[8:11], s4 offen
	buffer_load_dword v15, v6, s[8:11], s4 offen
	buffer_load_dword v16, v8, s[8:11], s4 offen
	buffer_load_dword v17, v9, s[8:11], s4 offen
	v_cndmask_b32_e64 v4, -1, v10, s[2:3]
	buffer_load_dword v4, v4, s[8:11], s4 offen
	s_movk_i32 s5, 0x3aee
	s_mov_b32 s7, 0xffff
	s_movk_i32 s4, 0x90
	s_mov_b32 s10, 0xbaee3aee
	v_mad_u32_u24 v13, v12, s4, 0
	s_movk_i32 s2, 0x120
	v_lshl_add_u32 v9, v7, 2, v13
	v_cmp_gt_u32_e64 s[2:3], s2, v0
	s_waitcnt vmcnt(3)
	v_pk_add_f16 v5, v11, v15
	s_waitcnt vmcnt(2)
	v_pk_add_f16 v6, v14, v16
	;; [unrolled: 2-line block ×3, first 2 shown]
	v_pk_add_f16 v10, v15, v17 neg_lo:[0,1] neg_hi:[0,1]
	s_waitcnt vmcnt(0)
	v_pk_add_f16 v15, v16, v4
	v_pk_add_f16 v16, v16, v4 neg_lo:[0,1] neg_hi:[0,1]
	v_pk_fma_f16 v8, v8, 0.5, v11 op_sel_hi:[1,0,1] neg_lo:[1,0,0] neg_hi:[1,0,0]
	v_pk_mul_f16 v10, v10, s5 op_sel_hi:[1,0]
	v_pk_fma_f16 v11, v15, 0.5, v14 op_sel_hi:[1,0,1] neg_lo:[1,0,0] neg_hi:[1,0,0]
	v_pk_add_f16 v14, v8, v10 op_sel:[0,1] op_sel_hi:[1,0]
	v_pk_add_f16 v10, v8, v10 op_sel:[0,1] op_sel_hi:[1,0] neg_lo:[0,1] neg_hi:[0,1]
	v_pk_fma_f16 v8, v16, s5, v11 op_sel:[0,0,1] op_sel_hi:[1,0,0]
	v_pk_fma_f16 v11, v16, s5, v11 op_sel:[0,0,1] op_sel_hi:[1,0,0] neg_lo:[1,0,0] neg_hi:[1,0,0]
	v_lshrrev_b32_e32 v15, 16, v8
	v_mul_f16_e32 v16, 0x3aee, v11
	v_pk_add_f16 v5, v5, v17
	v_bfi_b32 v8, s7, v8, v11
	v_fma_f16 v17, v15, 0.5, v16
	v_mul_f16_e32 v15, 0xbaee, v15
	v_pk_add_f16 v6, v6, v4
	v_pk_mul_f16 v18, v8, 0.5 op_sel_hi:[1,0]
	v_fma_f16 v11, v11, 0.5, v15
	v_pk_add_f16 v4, v5, v6
	v_pk_add_f16 v6, v5, v6 neg_lo:[0,1] neg_hi:[0,1]
	v_bfi_b32 v5, s7, v10, v14
	v_add_f16_e32 v16, v14, v17
	v_pk_fma_f16 v18, v8, s10, v18 op_sel:[0,0,1] op_sel_hi:[1,1,0] neg_lo:[0,0,1] neg_hi:[0,0,1]
	v_sub_f16_e32 v8, v14, v17
	v_add_f16_sdwa v17, v10, v11 dst_sel:DWORD dst_unused:UNUSED_PAD src0_sel:WORD_1 src1_sel:DWORD
	v_sub_f16_sdwa v15, v10, v11 dst_sel:DWORD dst_unused:UNUSED_PAD src0_sel:WORD_1 src1_sel:DWORD
	v_pk_add_f16 v14, v5, v18
	v_pk_add_f16 v5, v5, v18 neg_lo:[0,1] neg_hi:[0,1]
	v_pack_b32_f16 v10, v16, v17
	v_pack_b32_f16 v11, v8, v15
	ds_write2_b32 v9, v14, v6 offset0:12 offset1:18
	ds_write2_b32 v9, v4, v10 offset1:6
	ds_write2_b32 v9, v11, v5 offset0:24 offset1:30
	v_lshrrev_b32_e32 v18, 16, v14
	v_lshrrev_b32_e32 v19, 16, v6
	;; [unrolled: 1-line block ×3, first 2 shown]
	v_lshlrev_b32_e32 v11, 2, v7
	s_waitcnt lgkmcnt(0)
	s_barrier
	s_waitcnt lgkmcnt(0)
                                        ; implicit-def: $vgpr10
                                        ; implicit-def: $vgpr7
	s_and_saveexec_b64 s[4:5], s[2:3]
	s_cbranch_execz .LBB0_17
; %bb.16:
	v_mul_i32_i24_e32 v4, 0xffffff88, v12
	v_add3_u32 v7, v13, v4, v11
	ds_read_b32 v4, v7
	ds_read_b32 v16, v7 offset:1152
	ds_read_b32 v14, v7 offset:2304
	;; [unrolled: 1-line block ×6, first 2 shown]
	s_waitcnt lgkmcnt(5)
	v_lshrrev_b32_e32 v17, 16, v16
	s_waitcnt lgkmcnt(4)
	v_lshrrev_b32_e32 v18, 16, v14
	;; [unrolled: 2-line block ×6, first 2 shown]
.LBB0_17:
	s_or_b64 exec, exec, s[4:5]
	v_mul_hi_u32 v13, v12, s6
	s_movk_i32 s4, 0x3b00
	s_movk_i32 s11, 0x3574
	s_mov_b32 s6, 0xb574
	v_mul_u32_u24_e32 v13, 6, v13
	v_sub_u32_e32 v13, v12, v13
	v_mul_u32_u24_e32 v20, 6, v13
	v_lshlrev_b32_e32 v26, 2, v20
	global_load_dwordx4 v[20:23], v26, s[20:21]
	global_load_dwordx2 v[24:25], v26, s[20:21] offset:16
	s_movk_i32 s7, 0x2b26
	s_mov_b32 s5, 0xbcab
	s_movk_i32 s12, 0x39e0
	s_mov_b32 s10, 0xb9e0
	s_waitcnt vmcnt(0)
	s_barrier
	v_mul_f16_sdwa v26, v17, v20 dst_sel:DWORD dst_unused:UNUSED_PAD src0_sel:DWORD src1_sel:WORD_1
	v_mul_f16_sdwa v27, v16, v20 dst_sel:DWORD dst_unused:UNUSED_PAD src0_sel:DWORD src1_sel:WORD_1
	v_mul_f16_sdwa v28, v18, v21 dst_sel:DWORD dst_unused:UNUSED_PAD src0_sel:DWORD src1_sel:WORD_1
	v_fma_f16 v16, v16, v20, -v26
	v_mul_f16_sdwa v26, v14, v21 dst_sel:DWORD dst_unused:UNUSED_PAD src0_sel:DWORD src1_sel:WORD_1
	v_fma_f16 v17, v17, v20, v27
	v_mul_f16_sdwa v20, v19, v22 dst_sel:DWORD dst_unused:UNUSED_PAD src0_sel:DWORD src1_sel:WORD_1
	v_fma_f16 v14, v14, v21, -v28
	v_fma_f16 v18, v18, v21, v26
	v_mul_f16_sdwa v21, v15, v23 dst_sel:DWORD dst_unused:UNUSED_PAD src0_sel:DWORD src1_sel:WORD_1
	v_mul_f16_e32 v19, v19, v22
	v_mul_f16_sdwa v27, v6, v22 dst_sel:DWORD dst_unused:UNUSED_PAD src0_sel:DWORD src1_sel:WORD_1
	v_mul_f16_e32 v15, v15, v23
	v_fma_f16 v6, v6, v22, -v20
	v_mul_f16_sdwa v20, v8, v23 dst_sel:DWORD dst_unused:UNUSED_PAD src0_sel:DWORD src1_sel:WORD_1
	v_fma_f16 v8, v8, v23, -v21
	v_mul_f16_sdwa v21, v9, v24 dst_sel:DWORD dst_unused:UNUSED_PAD src0_sel:DWORD src1_sel:WORD_1
	v_mul_f16_sdwa v22, v5, v24 dst_sel:DWORD dst_unused:UNUSED_PAD src0_sel:DWORD src1_sel:WORD_1
	;; [unrolled: 1-line block ×4, first 2 shown]
	v_fma_f16 v5, v5, v24, -v21
	v_fma_f16 v9, v9, v24, v22
	v_fma_f16 v7, v7, v25, -v23
	v_fma_f16 v10, v10, v25, v26
	v_add_f16_e32 v21, v17, v10
	v_sub_f16_e32 v22, v16, v7
	v_sub_f16_e32 v10, v17, v10
	v_add_f16_e32 v17, v18, v9
	v_sub_f16_e32 v23, v14, v5
	v_sub_f16_e32 v9, v18, v9
	;; [unrolled: 1-line block ×3, first 2 shown]
	v_pack_b32_f16 v15, v16, v15
	v_pack_b32_f16 v7, v7, v20
	;; [unrolled: 1-line block ×4, first 2 shown]
	v_add_f16_e32 v19, v18, v23
	v_pk_add_f16 v7, v15, v7
	v_pk_add_f16 v5, v14, v5
	v_pack_b32_f16 v6, v6, v17
	v_pack_b32_f16 v8, v8, v21
	v_add_f16_e32 v15, v19, v22
	v_pk_add_f16 v19, v5, v7
	v_pk_add_f16 v6, v6, v8
	v_sub_f16_e32 v20, v18, v23
	v_sub_f16_e32 v23, v23, v22
	v_sub_f16_sdwa v14, v7, v5 dst_sel:DWORD dst_unused:UNUSED_PAD src0_sel:WORD_1 src1_sel:WORD_1
	v_sub_f16_e32 v8, v5, v7
	v_sub_f16_e32 v7, v7, v6
	v_sub_f16_e32 v5, v6, v5
	v_pk_add_f16 v6, v19, v6
	v_sub_f16_e32 v16, v17, v21
	v_sub_f16_e32 v18, v22, v18
	;; [unrolled: 1-line block ×3, first 2 shown]
	v_mul_f16_e32 v20, 0xb846, v20
	v_mul_f16_e32 v22, 0x3b00, v23
	v_sub_f16_sdwa v21, v21, v19 dst_sel:DWORD dst_unused:UNUSED_PAD src0_sel:DWORD src1_sel:WORD_1
	v_sub_f16_sdwa v17, v19, v17 dst_sel:DWORD dst_unused:UNUSED_PAD src0_sel:WORD_1 src1_sel:DWORD
	v_add_f16_e32 v26, v14, v9
	v_sub_f16_e32 v9, v14, v9
	v_pk_add_f16 v4, v4, v6
	v_mul_f16_e32 v25, 0x3b00, v24
	v_sub_f16_e32 v27, v10, v14
	v_fma_f16 v19, v18, s11, v20
	v_fma_f16 v20, v23, s4, -v20
	v_fma_f16 v18, v18, s6, -v22
	v_add_f16_e32 v10, v26, v10
	v_lshrrev_b32_e32 v22, 16, v6
	v_mul_f16_e32 v7, 0x3a52, v7
	v_mul_f16_e32 v21, 0x3a52, v21
	;; [unrolled: 1-line block ×5, first 2 shown]
	v_lshrrev_b32_e32 v14, 16, v4
	v_fma_f16 v6, v6, s5, v4
	v_fma_f16 v5, v5, s7, v7
	;; [unrolled: 1-line block ×3, first 2 shown]
	v_fma_f16 v23, v8, s12, -v23
	v_fma_f16 v26, v16, s12, -v26
	;; [unrolled: 1-line block ×4, first 2 shown]
	v_fma_f16 v16, v27, s11, v9
	v_fma_f16 v9, v24, s4, -v9
	v_fma_f16 v21, v22, s5, v14
	v_fma_f16 v22, v27, s6, -v25
	s_movk_i32 s4, 0x370e
	v_add_f16_e32 v24, v5, v6
	v_add_f16_e32 v25, v17, v21
	;; [unrolled: 1-line block ×6, first 2 shown]
	v_fma_f16 v27, v15, s4, v19
	v_fma_f16 v28, v10, s4, v16
	;; [unrolled: 1-line block ×6, first 2 shown]
	v_add_f16_e32 v5, v28, v24
	v_sub_f16_e32 v15, v25, v27
	v_add_f16_e32 v8, v10, v7
	v_sub_f16_e32 v16, v21, v20
	v_sub_f16_e32 v9, v23, v6
	v_add_f16_e32 v17, v19, v26
	v_add_f16_e32 v6, v6, v23
	v_sub_f16_e32 v18, v26, v19
	v_sub_f16_e32 v7, v7, v10
	v_add_f16_e32 v19, v20, v21
	v_sub_f16_e32 v10, v24, v28
	v_add_f16_e32 v20, v27, v25
	s_and_saveexec_b64 s[4:5], s[2:3]
	s_cbranch_execz .LBB0_19
; %bb.18:
	v_mul_lo_u16_e32 v21, 43, v12
	v_lshrrev_b16_e32 v21, 8, v21
	v_mad_u32_u24 v13, v21, 42, v13
	v_mul_i32_i24_e32 v13, 24, v13
	s_mov_b32 s2, 0x5040100
	v_add3_u32 v13, 0, v13, v11
	v_perm_b32 v21, v15, v5, s2
	ds_write2_b32 v13, v4, v21 offset1:36
	v_perm_b32 v21, v16, v8, s2
	v_perm_b32 v22, v17, v9, s2
	ds_write2_b32 v13, v21, v22 offset0:72 offset1:108
	v_perm_b32 v21, v18, v6, s2
	v_perm_b32 v22, v19, v7, s2
	ds_write2_b32 v13, v21, v22 offset0:144 offset1:180
	v_perm_b32 v21, v20, v10, s2
	ds_write_b32 v13, v21 offset:864
.LBB0_19:
	s_or_b64 exec, exec, s[4:5]
	s_movk_i32 s6, 0xfc
	v_cmp_gt_u32_e64 s[2:3], s6, v0
	s_waitcnt lgkmcnt(0)
	s_barrier
	s_waitcnt lgkmcnt(0)
                                        ; implicit-def: $vgpr13
	s_and_saveexec_b64 s[4:5], s[2:3]
	s_cbranch_execz .LBB0_21
; %bb.20:
	v_mul_u32_u24_e32 v4, 24, v12
	v_add3_u32 v10, 0, v4, v11
	ds_read2_b32 v[4:5], v10 offset1:252
	v_add_u32_e32 v6, 0x7e0, v10
	v_add_u32_e32 v7, 0xfc0, v10
	;; [unrolled: 1-line block ×3, first 2 shown]
	ds_read2_b32 v[8:9], v6 offset1:252
	ds_read2_b32 v[6:7], v7 offset1:252
	;; [unrolled: 1-line block ×3, first 2 shown]
	s_waitcnt lgkmcnt(3)
	v_lshrrev_b32_e32 v14, 16, v4
	v_lshrrev_b32_e32 v15, 16, v5
	s_waitcnt lgkmcnt(2)
	v_lshrrev_b32_e32 v16, 16, v8
	v_lshrrev_b32_e32 v17, 16, v9
	;; [unrolled: 3-line block ×4, first 2 shown]
.LBB0_21:
	s_or_b64 exec, exec, s[4:5]
	s_mov_b32 s2, 0x6186187
	v_mul_hi_u32 v21, v12, s2
	s_mov_b32 s2, 0xb9a8
	s_movk_i32 s3, 0x39a8
	s_movk_i32 s4, 0xfb
	v_mul_u32_u24_e32 v21, 42, v21
	v_sub_u32_e32 v12, v12, v21
	v_mul_u32_u24_e32 v21, 7, v12
	v_lshlrev_b32_e32 v25, 2, v21
	global_load_dwordx4 v[21:24], v25, s[20:21] offset:144
	v_cmp_lt_u32_e64 s[4:5], s4, v0
	s_or_b64 s[0:1], s[4:5], s[0:1]
	s_mov_b32 s11, 0x20000
	s_mov_b32 s10, -2
	s_waitcnt vmcnt(0)
	v_mul_f16_sdwa v26, v15, v21 dst_sel:DWORD dst_unused:UNUSED_PAD src0_sel:DWORD src1_sel:WORD_1
	v_fma_f16 v26, v5, v21, -v26
	v_mul_f16_sdwa v5, v5, v21 dst_sel:DWORD dst_unused:UNUSED_PAD src0_sel:DWORD src1_sel:WORD_1
	v_fma_f16 v5, v15, v21, v5
	v_mul_f16_sdwa v15, v16, v22 dst_sel:DWORD dst_unused:UNUSED_PAD src0_sel:DWORD src1_sel:WORD_1
	v_fma_f16 v21, v8, v22, -v15
	v_mul_f16_sdwa v8, v8, v22 dst_sel:DWORD dst_unused:UNUSED_PAD src0_sel:DWORD src1_sel:WORD_1
	v_mul_f16_sdwa v15, v17, v23 dst_sel:DWORD dst_unused:UNUSED_PAD src0_sel:DWORD src1_sel:WORD_1
	v_fma_f16 v8, v16, v22, v8
	v_fma_f16 v22, v9, v23, -v15
	v_mul_f16_sdwa v9, v9, v23 dst_sel:DWORD dst_unused:UNUSED_PAD src0_sel:DWORD src1_sel:WORD_1
	v_mul_f16_sdwa v15, v18, v24 dst_sel:DWORD dst_unused:UNUSED_PAD src0_sel:DWORD src1_sel:WORD_1
	v_fma_f16 v9, v17, v23, v9
	v_fma_f16 v23, v6, v24, -v15
	global_load_dwordx3 v[15:17], v25, s[20:21] offset:160
	v_mul_f16_sdwa v6, v6, v24 dst_sel:DWORD dst_unused:UNUSED_PAD src0_sel:DWORD src1_sel:WORD_1
	v_fma_f16 v6, v18, v24, v6
	v_sub_f16_e32 v6, v14, v6
	v_fma_f16 v14, v14, 2.0, -v6
	s_waitcnt vmcnt(0)
	v_mul_f16_sdwa v18, v19, v15 dst_sel:DWORD dst_unused:UNUSED_PAD src0_sel:DWORD src1_sel:WORD_1
	v_fma_f16 v18, v7, v15, -v18
	v_mul_f16_sdwa v7, v7, v15 dst_sel:DWORD dst_unused:UNUSED_PAD src0_sel:DWORD src1_sel:WORD_1
	v_fma_f16 v7, v19, v15, v7
	v_mul_f16_sdwa v15, v20, v16 dst_sel:DWORD dst_unused:UNUSED_PAD src0_sel:DWORD src1_sel:WORD_1
	v_fma_f16 v15, v10, v16, -v15
	v_mul_f16_sdwa v10, v10, v16 dst_sel:DWORD dst_unused:UNUSED_PAD src0_sel:DWORD src1_sel:WORD_1
	v_fma_f16 v10, v20, v16, v10
	;; [unrolled: 4-line block ×3, first 2 shown]
	v_sub_f16_e32 v10, v8, v10
	v_sub_f16_e32 v7, v5, v7
	;; [unrolled: 1-line block ×3, first 2 shown]
	v_fma_f16 v8, v8, 2.0, -v10
	v_fma_f16 v5, v5, 2.0, -v7
	v_sub_f16_e32 v16, v22, v16
	v_fma_f16 v9, v9, 2.0, -v11
	v_sub_f16_e32 v13, v4, v23
	v_sub_f16_e32 v15, v21, v15
	;; [unrolled: 1-line block ×3, first 2 shown]
	v_fma_f16 v20, v22, 2.0, -v16
	v_sub_f16_e32 v22, v14, v8
	v_sub_f16_e32 v9, v5, v9
	v_fma_f16 v4, v4, 2.0, -v13
	v_fma_f16 v17, v21, 2.0, -v15
	;; [unrolled: 1-line block ×5, first 2 shown]
	v_sub_f16_e32 v17, v4, v17
	v_add_f16_e32 v24, v6, v15
	v_sub_f16_e32 v20, v19, v20
	v_sub_f16_e32 v15, v8, v5
	v_fma_f16 v27, v8, 2.0, -v15
	v_sub_f16_e32 v8, v17, v9
	v_add_f16_e32 v9, v22, v20
	v_fma_f16 v4, v4, 2.0, -v17
	v_sub_f16_e32 v23, v13, v10
	v_fma_f16 v10, v19, 2.0, -v20
	v_sub_f16_e32 v25, v18, v11
	v_add_f16_e32 v16, v7, v16
	v_fma_f16 v20, v22, 2.0, -v9
	v_mul_lo_u32 v22, v12, v3
	v_fma_f16 v13, v13, 2.0, -v23
	v_fma_f16 v6, v6, 2.0, -v24
	;; [unrolled: 1-line block ×4, first 2 shown]
	v_sub_f16_e32 v14, v4, v10
	v_fma_f16 v26, v4, 2.0, -v14
	v_fma_f16 v4, v11, s2, v13
	v_fma_f16 v5, v7, s2, v6
	;; [unrolled: 1-line block ×5, first 2 shown]
	v_fma_f16 v21, v6, 2.0, -v11
	v_fma_f16 v5, v16, s3, v24
	v_fma_f16 v4, v16, s2, v4
	v_and_b32_e32 v6, 63, v22
	v_lshrrev_b32_e32 v16, 4, v22
	v_lshl_add_u32 v6, v6, 2, 0
	s_add_i32 s2, 0, 0x1f80
	v_and_b32_e32 v16, 0xfc, v16
	ds_read_b32 v6, v6 offset:8064
	v_add_u32_e32 v16, s2, v16
	ds_read_b32 v16, v16 offset:256
	v_fma_f16 v19, v17, 2.0, -v8
	v_fma_f16 v17, v23, 2.0, -v4
	s_waitcnt lgkmcnt(1)
	v_lshrrev_b32_e32 v7, 16, v6
	v_fma_f16 v5, v25, s3, v5
	s_waitcnt lgkmcnt(0)
	v_mul_f16_sdwa v23, v7, v16 dst_sel:DWORD dst_unused:UNUSED_PAD src0_sel:DWORD src1_sel:WORD_1
	v_fma_f16 v23, v6, v16, -v23
	v_mul_f16_sdwa v6, v6, v16 dst_sel:DWORD dst_unused:UNUSED_PAD src0_sel:DWORD src1_sel:WORD_1
	v_fma_f16 v6, v7, v16, v6
	v_lshrrev_b32_e32 v7, 10, v22
	v_and_b32_e32 v7, 0xfc, v7
	v_add_u32_e32 v7, s2, v7
	ds_read_b32 v7, v7 offset:512
	v_fma_f16 v18, v24, 2.0, -v5
	v_fma_f16 v13, v13, 2.0, -v10
	s_waitcnt lgkmcnt(0)
	v_mul_f16_sdwa v16, v6, v7 dst_sel:DWORD dst_unused:UNUSED_PAD src0_sel:DWORD src1_sel:WORD_1
	v_fma_f16 v16, v7, v23, -v16
	v_mul_f16_sdwa v23, v23, v7 dst_sel:DWORD dst_unused:UNUSED_PAD src0_sel:DWORD src1_sel:WORD_1
	v_fma_f16 v7, v7, v6, v23
	v_mul_f16_e32 v6, v27, v7
	v_mul_f16_e32 v7, v26, v7
	v_fma_f16 v6, v26, v16, -v6
	v_fma_f16 v7, v27, v16, v7
	v_mul_lo_u32 v16, v3, 42
	v_lshlrev_b32_e32 v7, 16, v7
	v_or_b32_sdwa v6, v7, v6 dst_sel:DWORD dst_unused:UNUSED_PAD src0_sel:DWORD src1_sel:WORD_0
	v_cndmask_b32_e64 v7, 0, 1, vcc
	v_add_u32_e32 v22, v22, v16
	v_and_b32_e32 v3, 63, v22
	v_lshrrev_b32_e32 v24, 4, v22
	v_lshl_add_u32 v3, v3, 2, 0
	v_and_b32_e32 v24, 0xfc, v24
	ds_read_b32 v3, v3 offset:8064
	v_add_u32_e32 v24, s2, v24
	ds_read_b32 v24, v24 offset:256
	s_waitcnt lgkmcnt(1)
	v_lshrrev_b32_e32 v23, 16, v3
	s_waitcnt lgkmcnt(0)
	v_mul_f16_sdwa v25, v23, v24 dst_sel:DWORD dst_unused:UNUSED_PAD src0_sel:DWORD src1_sel:WORD_1
	v_fma_f16 v25, v3, v24, -v25
	v_mul_f16_sdwa v3, v3, v24 dst_sel:DWORD dst_unused:UNUSED_PAD src0_sel:DWORD src1_sel:WORD_1
	v_fma_f16 v3, v23, v24, v3
	v_lshrrev_b32_e32 v23, 10, v22
	v_and_b32_e32 v23, 0xfc, v23
	v_add_u32_e32 v23, s2, v23
	ds_read_b32 v23, v23 offset:512
	v_add_u32_e32 v22, v22, v16
	s_waitcnt lgkmcnt(0)
	v_mul_f16_sdwa v24, v3, v23 dst_sel:DWORD dst_unused:UNUSED_PAD src0_sel:DWORD src1_sel:WORD_1
	v_fma_f16 v24, v23, v25, -v24
	v_mul_f16_sdwa v25, v25, v23 dst_sel:DWORD dst_unused:UNUSED_PAD src0_sel:DWORD src1_sel:WORD_1
	v_fma_f16 v23, v23, v3, v25
	v_mul_f16_e32 v3, v21, v23
	v_fma_f16 v3, v13, v24, -v3
	v_mul_f16_e32 v13, v13, v23
	v_fma_f16 v13, v21, v24, v13
	v_and_b32_e32 v21, 63, v22
	v_lshrrev_b32_e32 v24, 4, v22
	v_lshl_add_u32 v21, v21, 2, 0
	v_and_b32_e32 v24, 0xfc, v24
	ds_read_b32 v21, v21 offset:8064
	v_add_u32_e32 v24, s2, v24
	ds_read_b32 v24, v24 offset:256
	s_waitcnt lgkmcnt(1)
	v_lshrrev_b32_e32 v23, 16, v21
	s_waitcnt lgkmcnt(0)
	v_mul_f16_sdwa v25, v23, v24 dst_sel:DWORD dst_unused:UNUSED_PAD src0_sel:DWORD src1_sel:WORD_1
	v_fma_f16 v25, v21, v24, -v25
	v_mul_f16_sdwa v21, v21, v24 dst_sel:DWORD dst_unused:UNUSED_PAD src0_sel:DWORD src1_sel:WORD_1
	v_fma_f16 v21, v23, v24, v21
	v_lshrrev_b32_e32 v23, 10, v22
	v_and_b32_e32 v23, 0xfc, v23
	v_add_u32_e32 v23, s2, v23
	ds_read_b32 v23, v23 offset:512
	v_add_u32_e32 v22, v22, v16
	s_waitcnt lgkmcnt(0)
	v_mul_f16_sdwa v24, v21, v23 dst_sel:DWORD dst_unused:UNUSED_PAD src0_sel:DWORD src1_sel:WORD_1
	v_fma_f16 v24, v23, v25, -v24
	v_mul_f16_sdwa v25, v25, v23 dst_sel:DWORD dst_unused:UNUSED_PAD src0_sel:DWORD src1_sel:WORD_1
	v_fma_f16 v23, v23, v21, v25
	v_mul_f16_e32 v21, v20, v23
	v_fma_f16 v21, v19, v24, -v21
	v_mul_f16_e32 v19, v19, v23
	v_fma_f16 v19, v20, v24, v19
	;; [unrolled: 28-line block ×5, first 2 shown]
	v_and_b32_e32 v11, 63, v22
	v_lshrrev_b32_e32 v24, 4, v22
	v_lshl_add_u32 v11, v11, 2, 0
	v_and_b32_e32 v24, 0xfc, v24
	ds_read_b32 v11, v11 offset:8064
	v_add_u32_e32 v24, s2, v24
	ds_read_b32 v24, v24 offset:256
	s_waitcnt lgkmcnt(1)
	v_lshrrev_b32_e32 v23, 16, v11
	s_waitcnt lgkmcnt(0)
	v_mul_f16_sdwa v25, v23, v24 dst_sel:DWORD dst_unused:UNUSED_PAD src0_sel:DWORD src1_sel:WORD_1
	v_fma_f16 v25, v11, v24, -v25
	v_mul_f16_sdwa v11, v11, v24 dst_sel:DWORD dst_unused:UNUSED_PAD src0_sel:DWORD src1_sel:WORD_1
	v_fma_f16 v11, v23, v24, v11
	v_lshrrev_b32_e32 v23, 10, v22
	v_and_b32_e32 v23, 0xfc, v23
	v_add_u32_e32 v23, s2, v23
	ds_read_b32 v23, v23 offset:512
	s_waitcnt lgkmcnt(0)
	v_mul_f16_sdwa v24, v11, v23 dst_sel:DWORD dst_unused:UNUSED_PAD src0_sel:DWORD src1_sel:WORD_1
	v_fma_f16 v24, v23, v25, -v24
	v_mul_f16_sdwa v25, v25, v23 dst_sel:DWORD dst_unused:UNUSED_PAD src0_sel:DWORD src1_sel:WORD_1
	v_fma_f16 v23, v23, v11, v25
	v_mul_f16_e32 v11, v9, v23
	v_fma_f16 v11, v8, v24, -v11
	v_mul_f16_e32 v8, v8, v23
	v_fma_f16 v8, v9, v24, v8
	v_add_u32_e32 v9, v22, v16
	v_and_b32_e32 v16, 63, v9
	v_lshrrev_b32_e32 v23, 4, v9
	v_lshl_add_u32 v16, v16, 2, 0
	v_and_b32_e32 v23, 0xfc, v23
	ds_read_b32 v16, v16 offset:8064
	v_add_u32_e32 v23, s2, v23
	ds_read_b32 v23, v23 offset:256
	v_lshrrev_b32_e32 v9, 10, v9
	v_and_b32_e32 v9, 0xfc, v9
	v_add_u32_e32 v9, s2, v9
	ds_read_b32 v9, v9 offset:512
	s_waitcnt lgkmcnt(2)
	v_lshrrev_b32_e32 v22, 16, v16
	s_waitcnt lgkmcnt(1)
	v_mul_f16_sdwa v24, v22, v23 dst_sel:DWORD dst_unused:UNUSED_PAD src0_sel:DWORD src1_sel:WORD_1
	v_fma_f16 v24, v16, v23, -v24
	v_mul_f16_sdwa v16, v16, v23 dst_sel:DWORD dst_unused:UNUSED_PAD src0_sel:DWORD src1_sel:WORD_1
	v_fma_f16 v16, v22, v23, v16
	s_waitcnt lgkmcnt(0)
	v_mul_f16_sdwa v22, v16, v9 dst_sel:DWORD dst_unused:UNUSED_PAD src0_sel:DWORD src1_sel:WORD_1
	v_mul_f16_sdwa v23, v24, v9 dst_sel:DWORD dst_unused:UNUSED_PAD src0_sel:DWORD src1_sel:WORD_1
	v_fma_f16 v22, v9, v24, -v22
	v_fma_f16 v9, v9, v16, v23
	v_mul_f16_e32 v16, v5, v9
	v_fma_f16 v16, v4, v22, -v16
	v_mul_f16_e32 v4, v4, v9
	s_mov_b32 s2, 0x1041042
	v_fma_f16 v4, v5, v22, v4
	v_mul_hi_u32 v5, v0, s2
	s_movk_i32 s2, 0x150
	v_mad_u32_u24 v5, v5, s2, v12
	v_mul_lo_u32 v9, s16, v5
	v_cmp_gt_u32_e64 s[2:3], s6, v0
	v_cndmask_b32_e64 v0, 0, 1, s[2:3]
	v_cndmask_b32_e64 v0, v7, v0, s[0:1]
	v_and_b32_e32 v0, 1, v0
	v_cmp_eq_u32_e32 vcc, 1, v0
	v_add_lshl_u32 v0, v1, v9, 2
	v_cndmask_b32_e32 v0, -1, v0, vcc
	v_readfirstlane_b32 s0, v2
	v_lshlrev_b32_e32 v2, 16, v13
	v_or_b32_sdwa v2, v2, v3 dst_sel:DWORD dst_unused:UNUSED_PAD src0_sel:DWORD src1_sel:WORD_0
	s_nop 2
	buffer_store_dword v6, v0, s[8:11], s0 offen
	v_add_u32_e32 v0, 42, v5
	v_mul_lo_u32 v0, s16, v0
	v_add_lshl_u32 v0, v1, v0, 2
	v_cndmask_b32_e32 v0, -1, v0, vcc
	buffer_store_dword v2, v0, s[8:11], s0 offen
	v_add_u32_e32 v0, 0x54, v5
	v_mul_lo_u32 v0, s16, v0
	v_lshlrev_b32_e32 v2, 16, v19
	v_or_b32_sdwa v2, v2, v21 dst_sel:DWORD dst_unused:UNUSED_PAD src0_sel:DWORD src1_sel:WORD_0
	v_add_lshl_u32 v0, v1, v0, 2
	v_cndmask_b32_e32 v0, -1, v0, vcc
	buffer_store_dword v2, v0, s[8:11], s0 offen
	v_add_u32_e32 v0, 0x7e, v5
	v_mul_lo_u32 v0, s16, v0
	v_lshlrev_b32_e32 v2, 16, v17
	v_or_b32_sdwa v2, v2, v20 dst_sel:DWORD dst_unused:UNUSED_PAD src0_sel:DWORD src1_sel:WORD_0
	;; [unrolled: 7-line block ×6, first 2 shown]
	v_add_lshl_u32 v1, v1, v2, 2
	v_cndmask_b32_e32 v1, -1, v1, vcc
	buffer_store_dword v0, v1, s[8:11], s0 offen
	s_endpgm
	.section	.rodata,"a",@progbits
	.p2align	6, 0x0
	.amdhsa_kernel fft_rtc_fwd_len336_factors_6_7_8_wgs_336_tpt_56_half_ip_CI_sbcc_twdbase6_3step_dirReg_intrinsicReadWrite
		.amdhsa_group_segment_fixed_size 0
		.amdhsa_private_segment_fixed_size 0
		.amdhsa_kernarg_size 96
		.amdhsa_user_sgpr_count 6
		.amdhsa_user_sgpr_private_segment_buffer 1
		.amdhsa_user_sgpr_dispatch_ptr 0
		.amdhsa_user_sgpr_queue_ptr 0
		.amdhsa_user_sgpr_kernarg_segment_ptr 1
		.amdhsa_user_sgpr_dispatch_id 0
		.amdhsa_user_sgpr_flat_scratch_init 0
		.amdhsa_user_sgpr_private_segment_size 0
		.amdhsa_uses_dynamic_stack 0
		.amdhsa_system_sgpr_private_segment_wavefront_offset 0
		.amdhsa_system_sgpr_workgroup_id_x 1
		.amdhsa_system_sgpr_workgroup_id_y 0
		.amdhsa_system_sgpr_workgroup_id_z 0
		.amdhsa_system_sgpr_workgroup_info 0
		.amdhsa_system_vgpr_workitem_id 0
		.amdhsa_next_free_vgpr 29
		.amdhsa_next_free_sgpr 41
		.amdhsa_reserve_vcc 1
		.amdhsa_reserve_flat_scratch 0
		.amdhsa_float_round_mode_32 0
		.amdhsa_float_round_mode_16_64 0
		.amdhsa_float_denorm_mode_32 3
		.amdhsa_float_denorm_mode_16_64 3
		.amdhsa_dx10_clamp 1
		.amdhsa_ieee_mode 1
		.amdhsa_fp16_overflow 0
		.amdhsa_exception_fp_ieee_invalid_op 0
		.amdhsa_exception_fp_denorm_src 0
		.amdhsa_exception_fp_ieee_div_zero 0
		.amdhsa_exception_fp_ieee_overflow 0
		.amdhsa_exception_fp_ieee_underflow 0
		.amdhsa_exception_fp_ieee_inexact 0
		.amdhsa_exception_int_div_zero 0
	.end_amdhsa_kernel
	.text
.Lfunc_end0:
	.size	fft_rtc_fwd_len336_factors_6_7_8_wgs_336_tpt_56_half_ip_CI_sbcc_twdbase6_3step_dirReg_intrinsicReadWrite, .Lfunc_end0-fft_rtc_fwd_len336_factors_6_7_8_wgs_336_tpt_56_half_ip_CI_sbcc_twdbase6_3step_dirReg_intrinsicReadWrite
                                        ; -- End function
	.section	.AMDGPU.csdata,"",@progbits
; Kernel info:
; codeLenInByte = 5996
; NumSgprs: 45
; NumVgprs: 29
; ScratchSize: 0
; MemoryBound: 0
; FloatMode: 240
; IeeeMode: 1
; LDSByteSize: 0 bytes/workgroup (compile time only)
; SGPRBlocks: 5
; VGPRBlocks: 7
; NumSGPRsForWavesPerEU: 45
; NumVGPRsForWavesPerEU: 29
; Occupancy: 8
; WaveLimiterHint : 0
; COMPUTE_PGM_RSRC2:SCRATCH_EN: 0
; COMPUTE_PGM_RSRC2:USER_SGPR: 6
; COMPUTE_PGM_RSRC2:TRAP_HANDLER: 0
; COMPUTE_PGM_RSRC2:TGID_X_EN: 1
; COMPUTE_PGM_RSRC2:TGID_Y_EN: 0
; COMPUTE_PGM_RSRC2:TGID_Z_EN: 0
; COMPUTE_PGM_RSRC2:TIDIG_COMP_CNT: 0
	.type	__hip_cuid_a4e1f5c9e8e61a6c,@object ; @__hip_cuid_a4e1f5c9e8e61a6c
	.section	.bss,"aw",@nobits
	.globl	__hip_cuid_a4e1f5c9e8e61a6c
__hip_cuid_a4e1f5c9e8e61a6c:
	.byte	0                               ; 0x0
	.size	__hip_cuid_a4e1f5c9e8e61a6c, 1

	.ident	"AMD clang version 19.0.0git (https://github.com/RadeonOpenCompute/llvm-project roc-6.4.0 25133 c7fe45cf4b819c5991fe208aaa96edf142730f1d)"
	.section	".note.GNU-stack","",@progbits
	.addrsig
	.addrsig_sym __hip_cuid_a4e1f5c9e8e61a6c
	.amdgpu_metadata
---
amdhsa.kernels:
  - .args:
      - .actual_access:  read_only
        .address_space:  global
        .offset:         0
        .size:           8
        .value_kind:     global_buffer
      - .address_space:  global
        .offset:         8
        .size:           8
        .value_kind:     global_buffer
      - .offset:         16
        .size:           8
        .value_kind:     by_value
      - .actual_access:  read_only
        .address_space:  global
        .offset:         24
        .size:           8
        .value_kind:     global_buffer
      - .actual_access:  read_only
        .address_space:  global
        .offset:         32
        .size:           8
        .value_kind:     global_buffer
      - .offset:         40
        .size:           8
        .value_kind:     by_value
      - .actual_access:  read_only
        .address_space:  global
        .offset:         48
        .size:           8
        .value_kind:     global_buffer
      - .actual_access:  read_only
        .address_space:  global
        .offset:         56
        .size:           8
        .value_kind:     global_buffer
      - .offset:         64
        .size:           4
        .value_kind:     by_value
      - .actual_access:  read_only
        .address_space:  global
        .offset:         72
        .size:           8
        .value_kind:     global_buffer
      - .actual_access:  read_only
        .address_space:  global
        .offset:         80
        .size:           8
        .value_kind:     global_buffer
      - .address_space:  global
        .offset:         88
        .size:           8
        .value_kind:     global_buffer
    .group_segment_fixed_size: 0
    .kernarg_segment_align: 8
    .kernarg_segment_size: 96
    .language:       OpenCL C
    .language_version:
      - 2
      - 0
    .max_flat_workgroup_size: 336
    .name:           fft_rtc_fwd_len336_factors_6_7_8_wgs_336_tpt_56_half_ip_CI_sbcc_twdbase6_3step_dirReg_intrinsicReadWrite
    .private_segment_fixed_size: 0
    .sgpr_count:     45
    .sgpr_spill_count: 0
    .symbol:         fft_rtc_fwd_len336_factors_6_7_8_wgs_336_tpt_56_half_ip_CI_sbcc_twdbase6_3step_dirReg_intrinsicReadWrite.kd
    .uniform_work_group_size: 1
    .uses_dynamic_stack: false
    .vgpr_count:     29
    .vgpr_spill_count: 0
    .wavefront_size: 64
amdhsa.target:   amdgcn-amd-amdhsa--gfx906
amdhsa.version:
  - 1
  - 2
...

	.end_amdgpu_metadata
